;; amdgpu-corpus repo=zjin-lcf/HeCBench kind=compiled arch=gfx906 opt=O3
	.amdgcn_target "amdgcn-amd-amdhsa--gfx906"
	.amdhsa_code_object_version 6
	.text
	.protected	_Z16pair_HMM_forwardiiPA41_A4_A2_KdPA4_A2_A3_S_S3_PA2_S1_PS0_PA41_A4_A2_d ; -- Begin function _Z16pair_HMM_forwardiiPA41_A4_A2_KdPA4_A2_A3_S_S3_PA2_S1_PS0_PA41_A4_A2_d
	.globl	_Z16pair_HMM_forwardiiPA41_A4_A2_KdPA4_A2_A3_S_S3_PA2_S1_PS0_PA41_A4_A2_d
	.p2align	8
	.type	_Z16pair_HMM_forwardiiPA41_A4_A2_KdPA4_A2_A3_S_S3_PA2_S1_PS0_PA41_A4_A2_d,@function
_Z16pair_HMM_forwardiiPA41_A4_A2_KdPA4_A2_A3_S_S3_PA2_S1_PS0_PA41_A4_A2_d: ; @_Z16pair_HMM_forwardiiPA41_A4_A2_KdPA4_A2_A3_S_S3_PA2_S1_PS0_PA41_A4_A2_d
; %bb.0:
	s_load_dwordx8 s[8:15], s[4:5], 0x0
	s_add_u32 s0, s0, s7
	s_addc_u32 s1, s1, 0
	v_lshlrev_b32_e32 v2, 3, v0
	s_waitcnt lgkmcnt(0)
	s_mul_i32 s36, s8, 0xa40
	s_mul_hi_i32 s33, s8, 0xa40
	s_add_u32 s7, s14, s36
	s_addc_u32 s14, s15, s33
	s_ashr_i32 s35, s9, 31
	s_mov_b32 s34, s9
	s_lshl_b64 s[30:31], s[34:35], 6
	s_add_u32 s15, s7, s30
	s_addc_u32 s16, s14, s31
	s_ashr_i32 s7, s6, 31
	s_lshl_b64 s[24:25], s[6:7], 4
	s_add_u32 s14, s15, s24
	s_addc_u32 s15, s16, s25
	global_load_dwordx2 v[0:1], v2, s[14:15]
	s_lshl_b32 s35, s6, 4
	s_mul_i32 s16, s8, 0xc0
	s_addk_i32 s35, 0x100
	s_mul_hi_i32 s15, s8, 0xc0
	s_add_u32 s12, s12, s16
	s_mul_i32 s14, s6, 48
	s_addc_u32 s13, s13, s15
	s_mul_hi_i32 s7, s6, 48
	s_add_u32 s20, s12, s14
	s_addc_u32 s21, s13, s7
	s_load_dwordx2 s[28:29], s[4:5], 0x20
	s_load_dwordx2 s[26:27], s[4:5], 0x30
	s_load_dwordx4 s[12:15], s[20:21], 0x0
	s_load_dwordx4 s[16:19], s[20:21], 0x18
	s_add_u32 s38, s20, 0xffffff40
	s_addc_u32 s39, s21, -1
	s_lshl_b32 s7, s6, 5
	s_add_u32 s40, s20, 0xffffff58
	s_addc_u32 s41, s21, -1
	s_waitcnt lgkmcnt(0)
	v_mov_b32_e32 v5, s13
	v_mov_b32_e32 v6, s12
	;; [unrolled: 1-line block ×4, first 2 shown]
	s_load_dwordx4 s[20:23], s[38:39], 0x0
	s_load_dwordx4 s[12:15], s[40:41], 0x0
	v_mov_b32_e32 v4, s7
	v_mov_b32_e32 v9, s17
	;; [unrolled: 1-line block ×5, first 2 shown]
	s_cmp_gt_i32 s8, 0
	buffer_store_dword v5, v4, s[0:3], 0 offen offset:260
	buffer_store_dword v6, v4, s[0:3], 0 offen offset:256
	;; [unrolled: 1-line block ×16, first 2 shown]
	s_waitcnt lgkmcnt(0)
	v_mov_b32_e32 v5, s21
	v_mov_b32_e32 v6, s20
	;; [unrolled: 1-line block ×4, first 2 shown]
	buffer_store_dword v5, v4, s[0:3], 0 offen offset:4
	buffer_store_dword v6, v4, s[0:3], 0 offen
	buffer_store_dword v5, v4, s[0:3], 0 offen offset:132
	buffer_store_dword v6, v4, s[0:3], 0 offen offset:128
	;; [unrolled: 1-line block ×6, first 2 shown]
	v_mov_b32_e32 v5, s13
	v_mov_b32_e32 v6, s12
	s_cselect_b64 s[12:13], -1, 0
	s_cmp_lt_i32 s8, 1
	v_mov_b32_e32 v7, s15
	v_mov_b32_e32 v8, s14
	s_cselect_b64 s[14:15], -1, 0
	s_cmp_lg_u32 s9, 0
	s_cselect_b64 s[16:17], -1, 0
	s_or_b64 s[16:17], s[14:15], s[16:17]
	v_add_u32_e32 v3, s35, v2
	s_mov_b64 s[14:15], -1
	s_and_b64 vcc, exec, s[16:17]
	buffer_store_dword v5, v4, s[0:3], 0 offen offset:20
	buffer_store_dword v6, v4, s[0:3], 0 offen offset:16
	;; [unrolled: 1-line block ×8, first 2 shown]
	s_waitcnt vmcnt(32)
	ds_write_b64 v3, v[0:1]
	s_waitcnt vmcnt(0) lgkmcnt(0)
	s_barrier
	s_cbranch_vccz .LBB0_4
; %bb.1:
	s_cmp_lt_i32 s34, 1
	s_cselect_b64 s[14:15], -1, 0
	s_xor_b64 s[12:13], s[12:13], -1
	s_or_b64 s[12:13], s[12:13], s[14:15]
	s_and_b64 vcc, exec, s[12:13]
	s_cbranch_vccnz .LBB0_3
; %bb.2:
	s_add_i32 s12, s34, -1
	s_mov_b32 s13, 0
	s_lshl_b64 s[12:13], s[12:13], 6
	s_add_u32 s14, s10, s36
	s_addc_u32 s15, s11, s33
	s_add_u32 s9, s14, s12
	s_addc_u32 s12, s15, s13
	s_add_u32 s20, s9, s24
	s_addc_u32 s21, s12, s25
	s_add_u32 s16, s20, 0xfffff5c0
	s_addc_u32 s17, s21, -1
	s_lshl_b32 s9, s6, 4
	s_add_u32 s12, s14, s30
	s_addc_u32 s18, s15, s31
	s_add_u32 s38, s12, s24
	s_addc_u32 s39, s18, s25
	s_load_dwordx4 s[12:15], s[16:17], 0x0
	s_add_u32 s40, s38, 0xfffff5c0
	s_addc_u32 s41, s39, -1
	s_load_dwordx4 s[16:19], s[20:21], 0x0
	v_mov_b32_e32 v1, 0x200
	s_load_dwordx4 s[20:23], s[40:41], 0x0
	v_add_u32_e32 v0, s9, v1
	s_waitcnt lgkmcnt(0)
	v_mov_b32_e32 v1, s13
	buffer_store_dword v1, v0, s[0:3], 0 offen offset:4
	v_mov_b32_e32 v1, s12
	s_load_dwordx4 s[40:43], s[38:39], 0x0
	buffer_store_dword v1, v0, s[0:3], 0 offen
	v_mov_b32_e32 v1, s21
	buffer_store_dword v1, v0, s[0:3], 0 offen offset:68
	v_mov_b32_e32 v1, s20
	buffer_store_dword v1, v0, s[0:3], 0 offen offset:64
	;; [unrolled: 2-line block ×4, first 2 shown]
	s_waitcnt lgkmcnt(0)
	v_mov_b32_e32 v1, s41
	buffer_store_dword v1, v0, s[0:3], 0 offen offset:196
	v_mov_b32_e32 v1, s40
	buffer_store_dword v1, v0, s[0:3], 0 offen offset:192
	;; [unrolled: 2-line block ×10, first 2 shown]
	s_waitcnt vmcnt(0)
	s_barrier
	v_add_u32_e32 v24, s7, v2
	buffer_load_dword v4, v0, s[0:3], 0 offen
	buffer_load_dword v5, v0, s[0:3], 0 offen offset:4
	buffer_load_dword v6, v24, s[0:3], 0 offen
	buffer_load_dword v7, v24, s[0:3], 0 offen offset:4
	buffer_load_dword v9, v24, s[0:3], 0 offen offset:132
	;; [unrolled: 1-line block ×11, first 2 shown]
                                        ; kill: killed $vgpr0
	s_add_u32 s12, s28, s24
	s_addc_u32 s13, s29, s25
                                        ; kill: killed $sgpr12 killed $sgpr13
                                        ; kill: killed $vgpr24
	s_waitcnt vmcnt(10)
	v_fma_f64 v[4:5], v[4:5], v[6:7], 0
	s_waitcnt vmcnt(4)
	v_fma_f64 v[6:7], v[11:12], v[8:9], 0
	buffer_load_dword v9, v0, s[0:3], 0 offen offset:132
	buffer_load_dword v18, v0, s[0:3], 0 offen offset:136
	;; [unrolled: 1-line block ×3, first 2 shown]
	s_waitcnt vmcnt(3)
	v_fma_f64 v[4:5], v[14:15], v[16:17], v[4:5]
	buffer_load_dword v12, v24, s[0:3], 0 offen offset:260
	buffer_load_dword v15, v24, s[0:3], 0 offen offset:272
	;; [unrolled: 1-line block ×4, first 2 shown]
	s_waitcnt vmcnt(1)
	v_fma_f64 v[8:9], v[8:9], v[11:12], 0
	buffer_load_dword v21, v0, s[0:3], 0 offen offset:196
	buffer_load_dword v22, v0, s[0:3], 0 offen offset:200
	;; [unrolled: 1-line block ×6, first 2 shown]
	s_waitcnt vmcnt(0)
	v_fma_f64 v[0:1], v[13:14], v[10:11], v[6:7]
	buffer_load_dword v7, v24, s[0:3], 0 offen offset:388
	buffer_load_dword v10, v24, s[0:3], 0 offen offset:400
	;; [unrolled: 1-line block ×5, first 2 shown]
	s_waitcnt vmcnt(2)
	v_fma_f64 v[6:7], v[20:21], v[6:7], 0
	s_waitcnt vmcnt(1)
	v_fma_f64 v[8:9], v[18:19], v[15:16], v[8:9]
	;; [unrolled: 2-line block ×3, first 2 shown]
	global_load_dwordx2 v[10:11], v2, s[12:13]
	global_load_dwordx2 v[12:13], v2, s[12:13] offset:64
	global_load_dwordx2 v[14:15], v2, s[12:13] offset:128
	;; [unrolled: 1-line block ×3, first 2 shown]
	s_waitcnt vmcnt(3)
	v_mul_f64 v[4:5], v[4:5], v[10:11]
	s_waitcnt vmcnt(2)
	v_mul_f64 v[0:1], v[0:1], v[12:13]
	;; [unrolled: 2-line block ×4, first 2 shown]
	v_add_u32_e32 v10, s9, v2
	v_mov_b32_e32 v14, s9
	ds_write2_b64 v10, v[4:5], v[0:1] offset1:8
	ds_write2_b64 v10, v[8:9], v[6:7] offset0:16 offset1:24
	s_waitcnt lgkmcnt(0)
	s_barrier
	ds_read_b128 v[4:7], v14
	ds_read_b128 v[8:11], v14 offset:64
	s_add_u32 s9, s26, s36
	s_addc_u32 s12, s27, s33
	s_add_u32 s9, s9, s30
	s_addc_u32 s13, s12, s31
	s_waitcnt lgkmcnt(0)
	v_add_f64 v[0:1], v[4:5], v[8:9]
	v_add_f64 v[12:13], v[6:7], v[10:11]
	ds_read_b128 v[4:7], v14 offset:128
	ds_read_b128 v[8:11], v14 offset:192
	s_add_u32 s12, s9, s24
	s_addc_u32 s13, s13, s25
	s_waitcnt lgkmcnt(1)
	v_add_f64 v[0:1], v[0:1], v[4:5]
	v_add_f64 v[4:5], v[12:13], v[6:7]
	s_waitcnt lgkmcnt(0)
	v_add_f64 v[0:1], v[0:1], v[8:9]
	v_add_f64 v[8:9], v[4:5], v[10:11]
	v_mov_b32_e32 v4, s35
	ds_read_b128 v[4:7], v4
	s_waitcnt lgkmcnt(0)
	v_mul_f64 v[4:5], v[0:1], v[4:5]
	v_mul_f64 v[6:7], v[8:9], v[6:7]
	v_mov_b32_e32 v0, 0
	global_store_dwordx4 v0, v[4:7], s[12:13]
.LBB0_3:
	s_mov_b64 s[14:15], 0
.LBB0_4:
	s_andn2_b64 vcc, exec, s[14:15]
	s_cbranch_vccnz .LBB0_9
; %bb.5:
	s_cmp_lg_u32 s8, 1
	s_mov_b64 s[8:9], -1
	s_cbranch_scc0 .LBB0_7
; %bb.6:
	s_lshl_b32 s8, s6, 5
	s_add_i32 s12, s8, 0x200
	v_mov_b32_e32 v0, s7
	s_add_u32 s7, s10, s36
	s_addc_u32 s8, s11, s33
	s_add_u32 s7, s7, s30
	s_addc_u32 s9, s8, s31
	;; [unrolled: 2-line block ×3, first 2 shown]
	buffer_load_dword v4, v0, s[0:3], 0 offen offset:128
	buffer_load_dword v5, v0, s[0:3], 0 offen offset:132
	;; [unrolled: 1-line block ×8, first 2 shown]
	s_lshl_b32 s10, s6, 4
	global_load_dwordx2 v[0:1], v2, s[8:9] offset:-2624
	s_add_i32 s6, s10, 0x140
	v_mov_b32_e32 v12, s12
	v_add_u32_e32 v13, s12, v2
	v_add_u32_e32 v14, s6, v2
	s_add_u32 s6, s28, s24
	s_addc_u32 s7, s29, s25
                                        ; kill: killed $sgpr6 killed $sgpr7
	s_mov_b64 s[8:9], 0
	s_waitcnt vmcnt(7)
	buffer_store_dword v5, v12, s[0:3], 0 offen offset:4
	buffer_store_dword v4, v12, s[0:3], 0 offen
	s_waitcnt vmcnt(7)
	buffer_store_dword v7, v12, s[0:3], 0 offen offset:12
	buffer_store_dword v6, v12, s[0:3], 0 offen offset:8
	s_waitcnt vmcnt(7)
	buffer_store_dword v9, v12, s[0:3], 0 offen offset:20
	buffer_store_dword v8, v12, s[0:3], 0 offen offset:16
	;; [unrolled: 3-line block ×3, first 2 shown]
	v_mov_b32_e32 v4, s10
	s_waitcnt vmcnt(8)
	ds_write_b64 v14, v[0:1]
	s_waitcnt vmcnt(0) lgkmcnt(0)
	s_barrier
	buffer_load_dword v0, v13, s[0:3], 0 offen
	buffer_load_dword v1, v13, s[0:3], 0 offen offset:4
	global_load_dwordx2 v[8:9], v2, s[6:7] offset:64
	buffer_load_dword v10, v13, s[0:3], 0 offen offset:16
	buffer_load_dword v11, v13, s[0:3], 0 offen offset:20
	ds_read_b128 v[4:7], v4 offset:320
	s_add_u32 s6, s26, s36
	s_addc_u32 s7, s27, s33
	s_add_u32 s6, s6, s24
	s_addc_u32 s7, s7, s25
	s_waitcnt vmcnt(3) lgkmcnt(0)
	v_fma_f64 v[0:1], v[4:5], v[0:1], 0
	ds_read_b64 v[3:4], v3
	s_waitcnt vmcnt(2) lgkmcnt(0)
	v_mul_f64 v[3:4], v[3:4], v[8:9]
	s_waitcnt vmcnt(0)
	v_fma_f64 v[0:1], v[6:7], v[10:11], v[0:1]
	v_mul_f64 v[0:1], v[0:1], v[3:4]
	v_add_u32_e32 v3, s10, v2
	ds_write_b64 v3, v[0:1] offset:384
	s_waitcnt lgkmcnt(0)
	s_barrier
	ds_read_b64 v[0:1], v3 offset:384
	s_waitcnt lgkmcnt(0)
	global_store_dwordx2 v2, v[0:1], s[6:7]
.LBB0_7:
	s_andn2_b64 vcc, exec, s[8:9]
	s_cbranch_vccnz .LBB0_9
; %bb.8:
	s_load_dwordx2 s[4:5], s[4:5], 0x28
	ds_read_b64 v[3:4], v2 offset:256
	s_waitcnt lgkmcnt(0)
	s_add_u32 s4, s4, s24
	s_addc_u32 s5, s5, s25
	global_load_dwordx2 v[0:1], v2, s[4:5]
	s_add_u32 s4, s26, s24
	s_addc_u32 s5, s27, s25
	s_waitcnt vmcnt(0)
	v_mul_f64 v[0:1], v[0:1], v[3:4]
	global_store_dwordx2 v2, v[0:1], s[4:5] offset:2624
.LBB0_9:
	s_endpgm
	.section	.rodata,"a",@progbits
	.p2align	6, 0x0
	.amdhsa_kernel _Z16pair_HMM_forwardiiPA41_A4_A2_KdPA4_A2_A3_S_S3_PA2_S1_PS0_PA41_A4_A2_d
		.amdhsa_group_segment_fixed_size 448
		.amdhsa_private_segment_fixed_size 784
		.amdhsa_kernarg_size 56
		.amdhsa_user_sgpr_count 6
		.amdhsa_user_sgpr_private_segment_buffer 1
		.amdhsa_user_sgpr_dispatch_ptr 0
		.amdhsa_user_sgpr_queue_ptr 0
		.amdhsa_user_sgpr_kernarg_segment_ptr 1
		.amdhsa_user_sgpr_dispatch_id 0
		.amdhsa_user_sgpr_flat_scratch_init 0
		.amdhsa_user_sgpr_private_segment_size 0
		.amdhsa_uses_dynamic_stack 0
		.amdhsa_system_sgpr_private_segment_wavefront_offset 1
		.amdhsa_system_sgpr_workgroup_id_x 1
		.amdhsa_system_sgpr_workgroup_id_y 0
		.amdhsa_system_sgpr_workgroup_id_z 0
		.amdhsa_system_sgpr_workgroup_info 0
		.amdhsa_system_vgpr_workitem_id 0
		.amdhsa_next_free_vgpr 25
		.amdhsa_next_free_sgpr 44
		.amdhsa_reserve_vcc 1
		.amdhsa_reserve_flat_scratch 0
		.amdhsa_float_round_mode_32 0
		.amdhsa_float_round_mode_16_64 0
		.amdhsa_float_denorm_mode_32 3
		.amdhsa_float_denorm_mode_16_64 3
		.amdhsa_dx10_clamp 1
		.amdhsa_ieee_mode 1
		.amdhsa_fp16_overflow 0
		.amdhsa_exception_fp_ieee_invalid_op 0
		.amdhsa_exception_fp_denorm_src 0
		.amdhsa_exception_fp_ieee_div_zero 0
		.amdhsa_exception_fp_ieee_overflow 0
		.amdhsa_exception_fp_ieee_underflow 0
		.amdhsa_exception_fp_ieee_inexact 0
		.amdhsa_exception_int_div_zero 0
	.end_amdhsa_kernel
	.text
.Lfunc_end0:
	.size	_Z16pair_HMM_forwardiiPA41_A4_A2_KdPA4_A2_A3_S_S3_PA2_S1_PS0_PA41_A4_A2_d, .Lfunc_end0-_Z16pair_HMM_forwardiiPA41_A4_A2_KdPA4_A2_A3_S_S3_PA2_S1_PS0_PA41_A4_A2_d
                                        ; -- End function
	.set _Z16pair_HMM_forwardiiPA41_A4_A2_KdPA4_A2_A3_S_S3_PA2_S1_PS0_PA41_A4_A2_d.num_vgpr, 25
	.set _Z16pair_HMM_forwardiiPA41_A4_A2_KdPA4_A2_A3_S_S3_PA2_S1_PS0_PA41_A4_A2_d.num_agpr, 0
	.set _Z16pair_HMM_forwardiiPA41_A4_A2_KdPA4_A2_A3_S_S3_PA2_S1_PS0_PA41_A4_A2_d.numbered_sgpr, 44
	.set _Z16pair_HMM_forwardiiPA41_A4_A2_KdPA4_A2_A3_S_S3_PA2_S1_PS0_PA41_A4_A2_d.num_named_barrier, 0
	.set _Z16pair_HMM_forwardiiPA41_A4_A2_KdPA4_A2_A3_S_S3_PA2_S1_PS0_PA41_A4_A2_d.private_seg_size, 784
	.set _Z16pair_HMM_forwardiiPA41_A4_A2_KdPA4_A2_A3_S_S3_PA2_S1_PS0_PA41_A4_A2_d.uses_vcc, 1
	.set _Z16pair_HMM_forwardiiPA41_A4_A2_KdPA4_A2_A3_S_S3_PA2_S1_PS0_PA41_A4_A2_d.uses_flat_scratch, 0
	.set _Z16pair_HMM_forwardiiPA41_A4_A2_KdPA4_A2_A3_S_S3_PA2_S1_PS0_PA41_A4_A2_d.has_dyn_sized_stack, 0
	.set _Z16pair_HMM_forwardiiPA41_A4_A2_KdPA4_A2_A3_S_S3_PA2_S1_PS0_PA41_A4_A2_d.has_recursion, 0
	.set _Z16pair_HMM_forwardiiPA41_A4_A2_KdPA4_A2_A3_S_S3_PA2_S1_PS0_PA41_A4_A2_d.has_indirect_call, 0
	.section	.AMDGPU.csdata,"",@progbits
; Kernel info:
; codeLenInByte = 2112
; TotalNumSgprs: 48
; NumVgprs: 25
; ScratchSize: 784
; MemoryBound: 1
; FloatMode: 240
; IeeeMode: 1
; LDSByteSize: 448 bytes/workgroup (compile time only)
; SGPRBlocks: 5
; VGPRBlocks: 6
; NumSGPRsForWavesPerEU: 48
; NumVGPRsForWavesPerEU: 25
; Occupancy: 9
; WaveLimiterHint : 1
; COMPUTE_PGM_RSRC2:SCRATCH_EN: 1
; COMPUTE_PGM_RSRC2:USER_SGPR: 6
; COMPUTE_PGM_RSRC2:TRAP_HANDLER: 0
; COMPUTE_PGM_RSRC2:TGID_X_EN: 1
; COMPUTE_PGM_RSRC2:TGID_Y_EN: 0
; COMPUTE_PGM_RSRC2:TGID_Z_EN: 0
; COMPUTE_PGM_RSRC2:TIDIG_COMP_CNT: 0
	.section	.AMDGPU.gpr_maximums,"",@progbits
	.set amdgpu.max_num_vgpr, 0
	.set amdgpu.max_num_agpr, 0
	.set amdgpu.max_num_sgpr, 0
	.section	.AMDGPU.csdata,"",@progbits
	.type	__hip_cuid_b30e6641685d278e,@object ; @__hip_cuid_b30e6641685d278e
	.section	.bss,"aw",@nobits
	.globl	__hip_cuid_b30e6641685d278e
__hip_cuid_b30e6641685d278e:
	.byte	0                               ; 0x0
	.size	__hip_cuid_b30e6641685d278e, 1

	.ident	"AMD clang version 22.0.0git (https://github.com/RadeonOpenCompute/llvm-project roc-7.2.4 26084 f58b06dce1f9c15707c5f808fd002e18c2accf7e)"
	.section	".note.GNU-stack","",@progbits
	.addrsig
	.addrsig_sym __hip_cuid_b30e6641685d278e
	.amdgpu_metadata
---
amdhsa.kernels:
  - .args:
      - .offset:         0
        .size:           4
        .value_kind:     by_value
      - .offset:         4
        .size:           4
        .value_kind:     by_value
      - .actual_access:  read_only
        .address_space:  global
        .offset:         8
        .size:           8
        .value_kind:     global_buffer
      - .actual_access:  read_only
        .address_space:  global
        .offset:         16
        .size:           8
        .value_kind:     global_buffer
      - .actual_access:  read_only
        .address_space:  global
        .offset:         24
        .size:           8
        .value_kind:     global_buffer
      - .actual_access:  read_only
        .address_space:  global
        .offset:         32
        .size:           8
        .value_kind:     global_buffer
      - .actual_access:  read_only
        .address_space:  global
        .offset:         40
        .size:           8
        .value_kind:     global_buffer
      - .actual_access:  write_only
        .address_space:  global
        .offset:         48
        .size:           8
        .value_kind:     global_buffer
    .group_segment_fixed_size: 448
    .kernarg_segment_align: 8
    .kernarg_segment_size: 56
    .language:       OpenCL C
    .language_version:
      - 2
      - 0
    .max_flat_workgroup_size: 1024
    .name:           _Z16pair_HMM_forwardiiPA41_A4_A2_KdPA4_A2_A3_S_S3_PA2_S1_PS0_PA41_A4_A2_d
    .private_segment_fixed_size: 784
    .sgpr_count:     48
    .sgpr_spill_count: 0
    .symbol:         _Z16pair_HMM_forwardiiPA41_A4_A2_KdPA4_A2_A3_S_S3_PA2_S1_PS0_PA41_A4_A2_d.kd
    .uniform_work_group_size: 1
    .uses_dynamic_stack: false
    .vgpr_count:     25
    .vgpr_spill_count: 0
    .wavefront_size: 64
amdhsa.target:   amdgcn-amd-amdhsa--gfx906
amdhsa.version:
  - 1
  - 2
...

	.end_amdgpu_metadata
